;; amdgpu-corpus repo=zjin-lcf/HeCBench kind=compiled arch=gfx950 opt=O3
	.amdgcn_target "amdgcn-amd-amdhsa--gfx950"
	.amdhsa_code_object_version 6
	.section	.text._Z19moe_sum_kernel_vec4ILi2EEvPfPKfi,"axG",@progbits,_Z19moe_sum_kernel_vec4ILi2EEvPfPKfi,comdat
	.protected	_Z19moe_sum_kernel_vec4ILi2EEvPfPKfi ; -- Begin function _Z19moe_sum_kernel_vec4ILi2EEvPfPKfi
	.globl	_Z19moe_sum_kernel_vec4ILi2EEvPfPKfi
	.p2align	8
	.type	_Z19moe_sum_kernel_vec4ILi2EEvPfPKfi,@function
_Z19moe_sum_kernel_vec4ILi2EEvPfPKfi:   ; @_Z19moe_sum_kernel_vec4ILi2EEvPfPKfi
; %bb.0:
	s_load_dword s3, s[0:1], 0x10
	s_waitcnt lgkmcnt(0)
	s_ashr_i32 s16, s3, 2
	v_cmp_gt_i32_e32 vcc, s16, v0
	s_and_saveexec_b64 s[4:5], vcc
	s_cbranch_execz .LBB0_10
; %bb.1:
	s_ashr_i32 s4, s3, 31
	s_mul_i32 s9, s4, s2
	s_load_dwordx4 s[4:7], s[0:1], 0x0
	s_load_dword s10, s[0:1], 0x24
	s_mul_hi_u32 s8, s3, s2
	v_add_u32_e32 v1, 1, v0
	s_add_i32 s1, s8, s9
	s_mul_i32 s0, s3, s2
	v_max_i32_e32 v2, s16, v1
	s_lshr_b64 s[2:3], s[0:1], 1
	v_sub_u32_e32 v4, v2, v0
	s_lshr_b64 s[8:9], s[0:1], 2
	s_waitcnt lgkmcnt(0)
	s_and_b32 s3, s10, 0xffff
	v_cmp_gt_u32_e64 s[10:11], 6, v4
	v_cmp_lt_u32_e32 vcc, 5, v4
	s_and_saveexec_b64 s[12:13], vcc
	s_cbranch_execz .LBB0_7
; %bb.2:
	v_cvt_f32_u32_e32 v2, s3
	v_add_u32_e32 v3, s3, v0
	v_mov_b32_e32 v5, s3
	v_cmp_gt_i32_e32 vcc, s16, v3
	v_rcp_iflag_f32_e32 v2, v2
	s_cmp_eq_u32 s3, 1
	v_max_i32_e32 v6, s16, v3
	v_addc_co_u32_e64 v3, s[0:1], v0, v5, vcc
	v_mul_f32_e32 v2, 0x4f7ffffe, v2
	v_cvt_u32_f32_e32 v2, v2
	s_cselect_b64 s[14:15], -1, 0
	s_sub_i32 s0, 0, s3
	v_sub_u32_e32 v3, v6, v3
	v_mul_lo_u32 v5, s0, v2
	v_mul_hi_u32 v5, v2, v5
	v_add_u32_e32 v2, v2, v5
	v_mul_hi_u32 v2, v3, v2
	v_mul_lo_u32 v5, v2, s3
	v_sub_u32_e32 v3, v3, v5
	v_add_u32_e32 v5, 1, v2
	v_cmp_le_u32_e64 s[0:1], s3, v3
	s_nop 1
	v_cndmask_b32_e64 v2, v2, v5, s[0:1]
	v_subrev_u32_e32 v5, s3, v3
	v_cndmask_b32_e64 v3, v3, v5, s[0:1]
	v_add_u32_e32 v5, 1, v2
	v_cmp_le_u32_e64 s[0:1], s3, v3
	v_add_u32_e32 v3, s2, v0
	s_nop 0
	v_cndmask_b32_e64 v2, v2, v5, s[0:1]
	v_addc_co_u32_e64 v5, s[0:1], v3, v2, vcc
	v_cmp_ge_i32_e64 s[0:1], v5, v3
	v_add_u32_e32 v3, s16, v3
	v_addc_co_u32_e32 v2, vcc, v3, v2, vcc
	v_cmp_ge_i32_e32 vcc, v2, v3
	s_and_b64 s[0:1], s[0:1], vcc
	s_and_b64 s[18:19], s[0:1], s[14:15]
	s_mov_b64 s[14:15], -1
	s_and_saveexec_b64 s[0:1], s[18:19]
	s_cbranch_execz .LBB0_6
; %bb.3:
	v_and_b32_e32 v5, -2, v4
	s_add_i32 s18, s2, s16
	s_mov_b32 s9, s2
	s_mov_b32 s17, s8
	;; [unrolled: 1-line block ×3, first 2 shown]
	s_mov_b64 s[14:15], 0
	v_mov_b32_e32 v6, v5
	v_mov_b64_e32 v[2:3], v[0:1]
.LBB0_4:                                ; =>This Inner Loop Header: Depth=1
	v_add_u32_e32 v8, s2, v2
	v_add_u32_e32 v10, s9, v3
	;; [unrolled: 1-line block ×4, first 2 shown]
	v_ashrrev_i32_e32 v9, 31, v8
	v_ashrrev_i32_e32 v11, 31, v10
	;; [unrolled: 1-line block ×4, first 2 shown]
	v_lshl_add_u64 v[24:25], v[8:9], 4, s[6:7]
	v_lshl_add_u64 v[26:27], v[10:11], 4, s[6:7]
	;; [unrolled: 1-line block ×4, first 2 shown]
	global_load_dwordx4 v[8:11], v[24:25], off
	global_load_dwordx4 v[12:15], v[26:27], off
	;; [unrolled: 1-line block ×4, first 2 shown]
	v_add_u32_e32 v24, s8, v2
	v_add_u32_e32 v6, -2, v6
	v_add_u32_e32 v26, s17, v3
	v_ashrrev_i32_e32 v25, 31, v24
	v_cmp_eq_u32_e32 vcc, 0, v6
	v_add_u32_e32 v3, 2, v3
	v_add_u32_e32 v2, 2, v2
	v_ashrrev_i32_e32 v27, 31, v26
	v_lshl_add_u64 v[24:25], v[24:25], 4, s[4:5]
	s_or_b64 s[14:15], vcc, s[14:15]
	v_lshl_add_u64 v[26:27], v[26:27], 4, s[4:5]
	s_waitcnt vmcnt(3)
	v_mov_b32_e32 v28, v8
	s_waitcnt vmcnt(2)
	v_mov_b32_e32 v29, v12
	v_mov_b32_e32 v12, v9
	;; [unrolled: 1-line block ×5, first 2 shown]
	s_waitcnt vmcnt(1)
	v_mov_b32_e32 v10, v16
	s_waitcnt vmcnt(0)
	v_mov_b32_e32 v11, v20
	v_mov_b32_e32 v20, v17
	;; [unrolled: 1-line block ×5, first 2 shown]
	v_pk_add_f32 v[18:19], v[28:29], 0 op_sel_hi:[1,0]
	v_pk_add_f32 v[12:13], v[12:13], 0 op_sel_hi:[1,0]
	;; [unrolled: 1-line block ×4, first 2 shown]
	v_pk_add_f32 v[18:19], v[18:19], v[10:11]
	v_pk_add_f32 v[8:9], v[12:13], v[20:21]
	;; [unrolled: 1-line block ×4, first 2 shown]
	v_mov_b32_e32 v12, v18
	v_mov_b32_e32 v13, v8
	;; [unrolled: 1-line block ×6, first 2 shown]
	global_store_dwordx4 v[24:25], v[12:15], off
	global_store_dwordx4 v[26:27], v[8:11], off
	s_andn2_b64 exec, exec, s[14:15]
	s_cbranch_execnz .LBB0_4
; %bb.5:
	s_or_b64 exec, exec, s[14:15]
	v_cmp_ne_u32_e32 vcc, v4, v5
	v_add_u32_e32 v0, v0, v5
	s_orn2_b64 s[14:15], vcc, exec
.LBB0_6:
	s_or_b64 exec, exec, s[0:1]
	s_andn2_b64 s[0:1], s[10:11], exec
	s_and_b64 s[10:11], s[14:15], exec
	s_or_b64 s[10:11], s[0:1], s[10:11]
.LBB0_7:
	s_or_b64 exec, exec, s[12:13]
	s_and_b64 exec, exec, s[10:11]
	s_cbranch_execz .LBB0_10
; %bb.8:
	v_ashrrev_i32_e32 v1, 31, v0
	s_ashr_i32 s9, s8, 31
	v_lshl_add_u64 v[2:3], v[0:1], 0, s[8:9]
	v_lshl_add_u64 v[2:3], v[2:3], 4, s[4:5]
	s_add_i32 s10, s16, s2
	v_lshl_add_u64 v[2:3], v[2:3], 0, 8
	s_lshl_b32 s0, s3, 4
	s_mov_b32 s1, 0
	s_mov_b64 s[4:5], 0
.LBB0_9:                                ; =>This Inner Loop Header: Depth=1
	v_add_u32_e32 v4, s2, v0
	v_add_u32_e32 v6, s10, v0
	v_ashrrev_i32_e32 v5, 31, v4
	v_ashrrev_i32_e32 v7, 31, v6
	v_lshl_add_u64 v[12:13], v[4:5], 4, s[6:7]
	v_lshl_add_u64 v[14:15], v[6:7], 4, s[6:7]
	global_load_dwordx4 v[4:7], v[12:13], off
	global_load_dwordx4 v[8:11], v[14:15], off
	v_add_u32_e32 v0, s3, v0
	v_cmp_le_i32_e32 vcc, s16, v0
	s_or_b64 s[4:5], vcc, s[4:5]
	s_waitcnt vmcnt(1)
	v_pk_add_f32 v[4:5], v[4:5], 0 op_sel_hi:[1,0]
	v_pk_add_f32 v[6:7], v[6:7], 0 op_sel_hi:[1,0]
	s_waitcnt vmcnt(0)
	v_pk_add_f32 v[4:5], v[4:5], v[8:9]
	v_pk_add_f32 v[6:7], v[6:7], v[10:11]
	global_store_dwordx4 v[2:3], v[4:7], off offset:-8
	v_lshl_add_u64 v[2:3], v[2:3], 0, s[0:1]
	s_andn2_b64 exec, exec, s[4:5]
	s_cbranch_execnz .LBB0_9
.LBB0_10:
	s_endpgm
	.section	.rodata,"a",@progbits
	.p2align	6, 0x0
	.amdhsa_kernel _Z19moe_sum_kernel_vec4ILi2EEvPfPKfi
		.amdhsa_group_segment_fixed_size 0
		.amdhsa_private_segment_fixed_size 0
		.amdhsa_kernarg_size 280
		.amdhsa_user_sgpr_count 2
		.amdhsa_user_sgpr_dispatch_ptr 0
		.amdhsa_user_sgpr_queue_ptr 0
		.amdhsa_user_sgpr_kernarg_segment_ptr 1
		.amdhsa_user_sgpr_dispatch_id 0
		.amdhsa_user_sgpr_kernarg_preload_length 0
		.amdhsa_user_sgpr_kernarg_preload_offset 0
		.amdhsa_user_sgpr_private_segment_size 0
		.amdhsa_uses_dynamic_stack 0
		.amdhsa_enable_private_segment 0
		.amdhsa_system_sgpr_workgroup_id_x 1
		.amdhsa_system_sgpr_workgroup_id_y 0
		.amdhsa_system_sgpr_workgroup_id_z 0
		.amdhsa_system_sgpr_workgroup_info 0
		.amdhsa_system_vgpr_workitem_id 0
		.amdhsa_next_free_vgpr 32
		.amdhsa_next_free_sgpr 20
		.amdhsa_accum_offset 32
		.amdhsa_reserve_vcc 1
		.amdhsa_float_round_mode_32 0
		.amdhsa_float_round_mode_16_64 0
		.amdhsa_float_denorm_mode_32 3
		.amdhsa_float_denorm_mode_16_64 3
		.amdhsa_dx10_clamp 1
		.amdhsa_ieee_mode 1
		.amdhsa_fp16_overflow 0
		.amdhsa_tg_split 0
		.amdhsa_exception_fp_ieee_invalid_op 0
		.amdhsa_exception_fp_denorm_src 0
		.amdhsa_exception_fp_ieee_div_zero 0
		.amdhsa_exception_fp_ieee_overflow 0
		.amdhsa_exception_fp_ieee_underflow 0
		.amdhsa_exception_fp_ieee_inexact 0
		.amdhsa_exception_int_div_zero 0
	.end_amdhsa_kernel
	.section	.text._Z19moe_sum_kernel_vec4ILi2EEvPfPKfi,"axG",@progbits,_Z19moe_sum_kernel_vec4ILi2EEvPfPKfi,comdat
.Lfunc_end0:
	.size	_Z19moe_sum_kernel_vec4ILi2EEvPfPKfi, .Lfunc_end0-_Z19moe_sum_kernel_vec4ILi2EEvPfPKfi
                                        ; -- End function
	.set _Z19moe_sum_kernel_vec4ILi2EEvPfPKfi.num_vgpr, 32
	.set _Z19moe_sum_kernel_vec4ILi2EEvPfPKfi.num_agpr, 0
	.set _Z19moe_sum_kernel_vec4ILi2EEvPfPKfi.numbered_sgpr, 20
	.set _Z19moe_sum_kernel_vec4ILi2EEvPfPKfi.num_named_barrier, 0
	.set _Z19moe_sum_kernel_vec4ILi2EEvPfPKfi.private_seg_size, 0
	.set _Z19moe_sum_kernel_vec4ILi2EEvPfPKfi.uses_vcc, 1
	.set _Z19moe_sum_kernel_vec4ILi2EEvPfPKfi.uses_flat_scratch, 0
	.set _Z19moe_sum_kernel_vec4ILi2EEvPfPKfi.has_dyn_sized_stack, 0
	.set _Z19moe_sum_kernel_vec4ILi2EEvPfPKfi.has_recursion, 0
	.set _Z19moe_sum_kernel_vec4ILi2EEvPfPKfi.has_indirect_call, 0
	.section	.AMDGPU.csdata,"",@progbits
; Kernel info:
; codeLenInByte = 904
; TotalNumSgprs: 26
; NumVgprs: 32
; NumAgprs: 0
; TotalNumVgprs: 32
; ScratchSize: 0
; MemoryBound: 0
; FloatMode: 240
; IeeeMode: 1
; LDSByteSize: 0 bytes/workgroup (compile time only)
; SGPRBlocks: 3
; VGPRBlocks: 3
; NumSGPRsForWavesPerEU: 26
; NumVGPRsForWavesPerEU: 32
; AccumOffset: 32
; Occupancy: 8
; WaveLimiterHint : 0
; COMPUTE_PGM_RSRC2:SCRATCH_EN: 0
; COMPUTE_PGM_RSRC2:USER_SGPR: 2
; COMPUTE_PGM_RSRC2:TRAP_HANDLER: 0
; COMPUTE_PGM_RSRC2:TGID_X_EN: 1
; COMPUTE_PGM_RSRC2:TGID_Y_EN: 0
; COMPUTE_PGM_RSRC2:TGID_Z_EN: 0
; COMPUTE_PGM_RSRC2:TIDIG_COMP_CNT: 0
; COMPUTE_PGM_RSRC3_GFX90A:ACCUM_OFFSET: 7
; COMPUTE_PGM_RSRC3_GFX90A:TG_SPLIT: 0
	.section	.text._Z19moe_sum_kernel_vec4ILi3EEvPfPKfi,"axG",@progbits,_Z19moe_sum_kernel_vec4ILi3EEvPfPKfi,comdat
	.protected	_Z19moe_sum_kernel_vec4ILi3EEvPfPKfi ; -- Begin function _Z19moe_sum_kernel_vec4ILi3EEvPfPKfi
	.globl	_Z19moe_sum_kernel_vec4ILi3EEvPfPKfi
	.p2align	8
	.type	_Z19moe_sum_kernel_vec4ILi3EEvPfPKfi,@function
_Z19moe_sum_kernel_vec4ILi3EEvPfPKfi:   ; @_Z19moe_sum_kernel_vec4ILi3EEvPfPKfi
; %bb.0:
	s_load_dword s3, s[0:1], 0x10
	s_waitcnt lgkmcnt(0)
	s_ashr_i32 s18, s3, 2
	v_cmp_gt_i32_e32 vcc, s18, v0
	s_and_saveexec_b64 s[4:5], vcc
	s_cbranch_execz .LBB1_10
; %bb.1:
	s_ashr_i32 s4, s3, 31
	s_mul_hi_u32 s5, s3, s2
	s_mul_i32 s4, s4, s2
	s_add_i32 s5, s5, s4
	s_mul_i32 s4, s3, s2
	s_load_dwordx4 s[8:11], s[0:1], 0x0
	s_load_dword s3, s[0:1], 0x24
	s_mul_i32 s2, s5, 3
	s_mul_hi_u32 s0, s4, 3
	v_add_u32_e32 v1, 1, v0
	s_add_i32 s1, s0, s2
	s_mul_i32 s0, s4, 3
	v_max_i32_e32 v2, s18, v1
	s_lshr_b64 s[6:7], s[0:1], 2
	v_sub_u32_e32 v4, v2, v0
	s_lshr_b64 s[12:13], s[4:5], 2
	s_waitcnt lgkmcnt(0)
	s_and_b32 s7, s3, 0xffff
	s_lshl_b32 s19, s18, 1
	v_cmp_gt_u32_e64 s[14:15], 6, v4
	v_cmp_lt_u32_e32 vcc, 5, v4
	s_and_saveexec_b64 s[16:17], vcc
	s_cbranch_execz .LBB1_7
; %bb.2:
	v_cvt_f32_u32_e32 v2, s7
	v_add_u32_e32 v3, s7, v0
	v_mov_b32_e32 v5, s7
	v_cmp_gt_i32_e32 vcc, s18, v3
	v_rcp_iflag_f32_e32 v2, v2
	s_cmp_eq_u32 s7, 1
	v_max_i32_e32 v6, s18, v3
	v_addc_co_u32_e64 v3, s[0:1], v0, v5, vcc
	v_mul_f32_e32 v2, 0x4f7ffffe, v2
	v_cvt_u32_f32_e32 v2, v2
	s_cselect_b64 s[20:21], -1, 0
	s_sub_i32 s0, 0, s7
	v_sub_u32_e32 v3, v6, v3
	v_mul_lo_u32 v5, s0, v2
	v_mul_hi_u32 v5, v2, v5
	v_add_u32_e32 v2, v2, v5
	v_mul_hi_u32 v2, v3, v2
	v_mul_lo_u32 v5, v2, s7
	v_sub_u32_e32 v3, v3, v5
	v_add_u32_e32 v5, 1, v2
	v_cmp_le_u32_e64 s[0:1], s7, v3
	s_nop 1
	v_cndmask_b32_e64 v2, v2, v5, s[0:1]
	v_subrev_u32_e32 v5, s7, v3
	v_cndmask_b32_e64 v3, v3, v5, s[0:1]
	v_add_u32_e32 v5, 1, v2
	v_cmp_le_u32_e64 s[0:1], s7, v3
	v_add_u32_e32 v3, s12, v0
	s_nop 0
	v_cndmask_b32_e64 v2, v2, v5, s[0:1]
	v_addc_co_u32_e64 v5, s[0:1], v3, v2, vcc
	v_cmp_ge_i32_e64 s[0:1], v5, v3
	v_add_u32_e32 v3, s6, v0
	v_addc_co_u32_e64 v5, s[2:3], v3, v2, vcc
	v_cmp_ge_i32_e64 s[2:3], v5, v3
	v_add_u32_e32 v3, s18, v3
	;; [unrolled: 3-line block ×3, first 2 shown]
	s_and_b64 s[0:1], s[0:1], s[2:3]
	v_addc_co_u32_e32 v2, vcc, v3, v2, vcc
	s_and_b64 s[0:1], s[0:1], s[20:21]
	v_cmp_ge_i32_e32 vcc, v2, v3
	s_and_b64 s[0:1], s[0:1], s[4:5]
	s_and_b64 s[4:5], s[0:1], vcc
	s_mov_b64 s[2:3], -1
	s_and_saveexec_b64 s[0:1], s[4:5]
	s_cbranch_execz .LBB1_6
; %bb.3:
	v_and_b32_e32 v5, -2, v4
	s_mov_b32 s4, s19
	s_mov_b32 s5, s6
	;; [unrolled: 1-line block ×4, first 2 shown]
	s_mov_b64 s[2:3], 0
	v_mov_b32_e32 v6, v5
	v_mov_b64_e32 v[2:3], v[0:1]
.LBB1_4:                                ; =>This Inner Loop Header: Depth=1
	v_add_u32_e32 v8, s6, v2
	v_add_u32_e32 v10, s5, v3
	v_ashrrev_i32_e32 v9, 31, v8
	v_ashrrev_i32_e32 v11, 31, v10
	v_add_u32_e32 v16, s18, v8
	v_lshl_add_u64 v[24:25], v[8:9], 4, s[10:11]
	v_add_u32_e32 v18, s13, v10
	v_add_u32_e32 v20, s19, v8
	;; [unrolled: 1-line block ×3, first 2 shown]
	v_lshl_add_u64 v[26:27], v[10:11], 4, s[10:11]
	v_ashrrev_i32_e32 v17, 31, v16
	global_load_dwordx4 v[8:11], v[24:25], off
	global_load_dwordx4 v[12:15], v[26:27], off
	v_ashrrev_i32_e32 v19, 31, v18
	v_ashrrev_i32_e32 v23, 31, v22
	;; [unrolled: 1-line block ×3, first 2 shown]
	v_lshl_add_u64 v[32:33], v[16:17], 4, s[10:11]
	v_lshl_add_u64 v[34:35], v[18:19], 4, s[10:11]
	;; [unrolled: 1-line block ×4, first 2 shown]
	global_load_dwordx4 v[16:19], v[32:33], off
	global_load_dwordx4 v[20:23], v[34:35], off
	;; [unrolled: 1-line block ×4, first 2 shown]
	v_add_u32_e32 v32, s12, v2
	v_add_u32_e32 v6, -2, v6
	v_add_u32_e32 v34, s20, v3
	v_ashrrev_i32_e32 v33, 31, v32
	v_cmp_eq_u32_e32 vcc, 0, v6
	v_add_u32_e32 v3, 2, v3
	v_add_u32_e32 v2, 2, v2
	v_ashrrev_i32_e32 v35, 31, v34
	v_lshl_add_u64 v[32:33], v[32:33], 4, s[8:9]
	s_or_b64 s[2:3], vcc, s[2:3]
	v_lshl_add_u64 v[34:35], v[34:35], 4, s[8:9]
	s_waitcnt vmcnt(5)
	v_mov_b32_e32 v36, v8
	s_waitcnt vmcnt(4)
	v_mov_b32_e32 v37, v12
	v_mov_b32_e32 v12, v9
	;; [unrolled: 1-line block ×5, first 2 shown]
	v_pk_add_f32 v[10:11], v[36:37], 0 op_sel_hi:[1,0]
	v_pk_add_f32 v[12:13], v[12:13], 0 op_sel_hi:[1,0]
	;; [unrolled: 1-line block ×4, first 2 shown]
	s_waitcnt vmcnt(3)
	v_mov_b32_e32 v36, v16
	s_waitcnt vmcnt(2)
	v_mov_b32_e32 v37, v20
	v_mov_b32_e32 v20, v17
	;; [unrolled: 1-line block ×5, first 2 shown]
	s_waitcnt vmcnt(1)
	v_mov_b32_e32 v18, v24
	s_waitcnt vmcnt(0)
	v_mov_b32_e32 v19, v28
	v_mov_b32_e32 v28, v25
	v_mov_b32_e32 v24, v26
	v_mov_b32_e32 v25, v30
	v_mov_b32_e32 v30, v27
	v_pk_add_f32 v[10:11], v[10:11], v[36:37]
	v_pk_add_f32 v[12:13], v[12:13], v[20:21]
	;; [unrolled: 1-line block ×8, first 2 shown]
	v_mov_b32_e32 v12, v18
	v_mov_b32_e32 v13, v8
	;; [unrolled: 1-line block ×6, first 2 shown]
	global_store_dwordx4 v[32:33], v[12:15], off
	global_store_dwordx4 v[34:35], v[8:11], off
	s_andn2_b64 exec, exec, s[2:3]
	s_cbranch_execnz .LBB1_4
; %bb.5:
	s_or_b64 exec, exec, s[2:3]
	v_cmp_ne_u32_e32 vcc, v4, v5
	v_add_u32_e32 v0, v0, v5
	s_orn2_b64 s[2:3], vcc, exec
.LBB1_6:
	s_or_b64 exec, exec, s[0:1]
	s_andn2_b64 s[0:1], s[14:15], exec
	s_and_b64 s[2:3], s[2:3], exec
	s_or_b64 s[14:15], s[0:1], s[2:3]
.LBB1_7:
	s_or_b64 exec, exec, s[16:17]
	s_and_b64 exec, exec, s[14:15]
	s_cbranch_execz .LBB1_10
; %bb.8:
	v_ashrrev_i32_e32 v1, 31, v0
	s_ashr_i32 s13, s12, 31
	v_lshl_add_u64 v[2:3], v[0:1], 0, s[12:13]
	v_lshl_add_u64 v[2:3], v[2:3], 4, s[8:9]
	s_add_i32 s4, s18, s6
	v_lshl_add_u64 v[2:3], v[2:3], 0, 8
	s_lshl_b32 s0, s7, 4
	s_mov_b32 s1, 0
	s_add_i32 s5, s6, s19
	s_mov_b64 s[2:3], 0
.LBB1_9:                                ; =>This Inner Loop Header: Depth=1
	v_add_u32_e32 v4, s6, v0
	v_add_u32_e32 v6, s4, v0
	;; [unrolled: 1-line block ×3, first 2 shown]
	v_ashrrev_i32_e32 v5, 31, v4
	v_ashrrev_i32_e32 v7, 31, v6
	;; [unrolled: 1-line block ×3, first 2 shown]
	v_lshl_add_u64 v[16:17], v[4:5], 4, s[10:11]
	v_lshl_add_u64 v[18:19], v[6:7], 4, s[10:11]
	;; [unrolled: 1-line block ×3, first 2 shown]
	global_load_dwordx4 v[4:7], v[16:17], off
	global_load_dwordx4 v[8:11], v[18:19], off
	;; [unrolled: 1-line block ×3, first 2 shown]
	v_add_u32_e32 v0, s7, v0
	v_cmp_le_i32_e32 vcc, s18, v0
	s_or_b64 s[2:3], vcc, s[2:3]
	s_waitcnt vmcnt(2)
	v_pk_add_f32 v[4:5], v[4:5], 0 op_sel_hi:[1,0]
	v_pk_add_f32 v[6:7], v[6:7], 0 op_sel_hi:[1,0]
	s_waitcnt vmcnt(1)
	v_pk_add_f32 v[4:5], v[4:5], v[8:9]
	v_pk_add_f32 v[6:7], v[6:7], v[10:11]
	s_waitcnt vmcnt(0)
	v_pk_add_f32 v[4:5], v[4:5], v[12:13]
	v_pk_add_f32 v[6:7], v[6:7], v[14:15]
	global_store_dwordx4 v[2:3], v[4:7], off offset:-8
	v_lshl_add_u64 v[2:3], v[2:3], 0, s[0:1]
	s_andn2_b64 exec, exec, s[2:3]
	s_cbranch_execnz .LBB1_9
.LBB1_10:
	s_endpgm
	.section	.rodata,"a",@progbits
	.p2align	6, 0x0
	.amdhsa_kernel _Z19moe_sum_kernel_vec4ILi3EEvPfPKfi
		.amdhsa_group_segment_fixed_size 0
		.amdhsa_private_segment_fixed_size 0
		.amdhsa_kernarg_size 280
		.amdhsa_user_sgpr_count 2
		.amdhsa_user_sgpr_dispatch_ptr 0
		.amdhsa_user_sgpr_queue_ptr 0
		.amdhsa_user_sgpr_kernarg_segment_ptr 1
		.amdhsa_user_sgpr_dispatch_id 0
		.amdhsa_user_sgpr_kernarg_preload_length 0
		.amdhsa_user_sgpr_kernarg_preload_offset 0
		.amdhsa_user_sgpr_private_segment_size 0
		.amdhsa_uses_dynamic_stack 0
		.amdhsa_enable_private_segment 0
		.amdhsa_system_sgpr_workgroup_id_x 1
		.amdhsa_system_sgpr_workgroup_id_y 0
		.amdhsa_system_sgpr_workgroup_id_z 0
		.amdhsa_system_sgpr_workgroup_info 0
		.amdhsa_system_vgpr_workitem_id 0
		.amdhsa_next_free_vgpr 40
		.amdhsa_next_free_sgpr 22
		.amdhsa_accum_offset 40
		.amdhsa_reserve_vcc 1
		.amdhsa_float_round_mode_32 0
		.amdhsa_float_round_mode_16_64 0
		.amdhsa_float_denorm_mode_32 3
		.amdhsa_float_denorm_mode_16_64 3
		.amdhsa_dx10_clamp 1
		.amdhsa_ieee_mode 1
		.amdhsa_fp16_overflow 0
		.amdhsa_tg_split 0
		.amdhsa_exception_fp_ieee_invalid_op 0
		.amdhsa_exception_fp_denorm_src 0
		.amdhsa_exception_fp_ieee_div_zero 0
		.amdhsa_exception_fp_ieee_overflow 0
		.amdhsa_exception_fp_ieee_underflow 0
		.amdhsa_exception_fp_ieee_inexact 0
		.amdhsa_exception_int_div_zero 0
	.end_amdhsa_kernel
	.section	.text._Z19moe_sum_kernel_vec4ILi3EEvPfPKfi,"axG",@progbits,_Z19moe_sum_kernel_vec4ILi3EEvPfPKfi,comdat
.Lfunc_end1:
	.size	_Z19moe_sum_kernel_vec4ILi3EEvPfPKfi, .Lfunc_end1-_Z19moe_sum_kernel_vec4ILi3EEvPfPKfi
                                        ; -- End function
	.set _Z19moe_sum_kernel_vec4ILi3EEvPfPKfi.num_vgpr, 40
	.set _Z19moe_sum_kernel_vec4ILi3EEvPfPKfi.num_agpr, 0
	.set _Z19moe_sum_kernel_vec4ILi3EEvPfPKfi.numbered_sgpr, 22
	.set _Z19moe_sum_kernel_vec4ILi3EEvPfPKfi.num_named_barrier, 0
	.set _Z19moe_sum_kernel_vec4ILi3EEvPfPKfi.private_seg_size, 0
	.set _Z19moe_sum_kernel_vec4ILi3EEvPfPKfi.uses_vcc, 1
	.set _Z19moe_sum_kernel_vec4ILi3EEvPfPKfi.uses_flat_scratch, 0
	.set _Z19moe_sum_kernel_vec4ILi3EEvPfPKfi.has_dyn_sized_stack, 0
	.set _Z19moe_sum_kernel_vec4ILi3EEvPfPKfi.has_recursion, 0
	.set _Z19moe_sum_kernel_vec4ILi3EEvPfPKfi.has_indirect_call, 0
	.section	.AMDGPU.csdata,"",@progbits
; Kernel info:
; codeLenInByte = 1132
; TotalNumSgprs: 28
; NumVgprs: 40
; NumAgprs: 0
; TotalNumVgprs: 40
; ScratchSize: 0
; MemoryBound: 0
; FloatMode: 240
; IeeeMode: 1
; LDSByteSize: 0 bytes/workgroup (compile time only)
; SGPRBlocks: 3
; VGPRBlocks: 4
; NumSGPRsForWavesPerEU: 28
; NumVGPRsForWavesPerEU: 40
; AccumOffset: 40
; Occupancy: 8
; WaveLimiterHint : 0
; COMPUTE_PGM_RSRC2:SCRATCH_EN: 0
; COMPUTE_PGM_RSRC2:USER_SGPR: 2
; COMPUTE_PGM_RSRC2:TRAP_HANDLER: 0
; COMPUTE_PGM_RSRC2:TGID_X_EN: 1
; COMPUTE_PGM_RSRC2:TGID_Y_EN: 0
; COMPUTE_PGM_RSRC2:TGID_Z_EN: 0
; COMPUTE_PGM_RSRC2:TIDIG_COMP_CNT: 0
; COMPUTE_PGM_RSRC3_GFX90A:ACCUM_OFFSET: 9
; COMPUTE_PGM_RSRC3_GFX90A:TG_SPLIT: 0
	.section	.text._Z19moe_sum_kernel_vec4ILi4EEvPfPKfi,"axG",@progbits,_Z19moe_sum_kernel_vec4ILi4EEvPfPKfi,comdat
	.protected	_Z19moe_sum_kernel_vec4ILi4EEvPfPKfi ; -- Begin function _Z19moe_sum_kernel_vec4ILi4EEvPfPKfi
	.globl	_Z19moe_sum_kernel_vec4ILi4EEvPfPKfi
	.p2align	8
	.type	_Z19moe_sum_kernel_vec4ILi4EEvPfPKfi,@function
_Z19moe_sum_kernel_vec4ILi4EEvPfPKfi:   ; @_Z19moe_sum_kernel_vec4ILi4EEvPfPKfi
; %bb.0:
	s_load_dword s3, s[0:1], 0x10
	s_waitcnt lgkmcnt(0)
	s_ashr_i32 s20, s3, 2
	v_cmp_gt_i32_e32 vcc, s20, v0
	s_and_saveexec_b64 s[4:5], vcc
	s_cbranch_execz .LBB2_10
; %bb.1:
	s_load_dwordx4 s[8:11], s[0:1], 0x0
	s_load_dword s6, s[0:1], 0x24
	s_ashr_i32 s4, s3, 31
	v_add_u32_e32 v1, 1, v0
	s_mul_hi_u32 s5, s3, s2
	s_mul_i32 s4, s4, s2
	v_max_i32_e32 v2, s20, v1
	s_add_i32 s13, s5, s4
	s_mul_i32 s12, s3, s2
	v_sub_u32_e32 v4, v2, v0
	s_lshr_b64 s[14:15], s[12:13], 2
	s_waitcnt lgkmcnt(0)
	s_and_b32 s13, s6, 0xffff
	s_lshl_b32 s21, s20, 1
	s_mul_i32 s22, s20, 3
	v_cmp_gt_u32_e64 s[16:17], 6, v4
	v_cmp_lt_u32_e32 vcc, 5, v4
	s_and_saveexec_b64 s[18:19], vcc
	s_cbranch_execz .LBB2_7
; %bb.2:
	v_cvt_f32_u32_e32 v2, s13
	v_add_u32_e32 v3, s13, v0
	v_mov_b32_e32 v5, s13
	v_cmp_gt_i32_e32 vcc, s20, v3
	v_rcp_iflag_f32_e32 v2, v2
	s_cmp_eq_u32 s13, 1
	v_max_i32_e32 v6, s20, v3
	v_addc_co_u32_e64 v3, s[0:1], v0, v5, vcc
	v_mul_f32_e32 v2, 0x4f7ffffe, v2
	v_cvt_u32_f32_e32 v2, v2
	s_cselect_b64 s[24:25], -1, 0
	s_sub_i32 s0, 0, s13
	v_sub_u32_e32 v3, v6, v3
	v_mul_lo_u32 v5, s0, v2
	v_mul_hi_u32 v5, v2, v5
	v_add_u32_e32 v2, v2, v5
	v_mul_hi_u32 v2, v3, v2
	v_mul_lo_u32 v5, v2, s13
	v_sub_u32_e32 v3, v3, v5
	v_add_u32_e32 v5, 1, v2
	v_cmp_le_u32_e64 s[0:1], s13, v3
	s_nop 1
	v_cndmask_b32_e64 v2, v2, v5, s[0:1]
	v_subrev_u32_e32 v5, s13, v3
	v_cndmask_b32_e64 v3, v3, v5, s[0:1]
	v_add_u32_e32 v5, 1, v2
	v_cmp_le_u32_e64 s[0:1], s13, v3
	v_add_u32_e32 v3, s14, v0
	s_nop 0
	v_cndmask_b32_e64 v2, v2, v5, s[0:1]
	v_addc_co_u32_e64 v5, s[0:1], v3, v2, vcc
	v_cmp_ge_i32_e64 s[0:1], v5, v3
	v_add_u32_e32 v3, s12, v0
	v_addc_co_u32_e64 v5, s[2:3], v3, v2, vcc
	v_cmp_ge_i32_e64 s[2:3], v5, v3
	v_add_u32_e32 v5, s20, v3
	v_addc_co_u32_e64 v6, s[4:5], v5, v2, vcc
	v_add_u32_e32 v3, s21, v3
	v_cmp_ge_i32_e64 s[4:5], v6, v5
	v_addc_co_u32_e64 v5, s[6:7], v3, v2, vcc
	s_and_b64 s[0:1], s[0:1], s[2:3]
	v_cmp_ge_i32_e64 s[6:7], v5, v3
	v_add_u32_e32 v3, s20, v3
	s_and_b64 s[0:1], s[0:1], s[24:25]
	v_addc_co_u32_e32 v2, vcc, v3, v2, vcc
	s_and_b64 s[0:1], s[0:1], s[4:5]
	v_cmp_ge_i32_e32 vcc, v2, v3
	s_and_b64 s[0:1], s[0:1], s[6:7]
	s_and_b64 s[4:5], s[0:1], vcc
	s_mov_b64 s[2:3], -1
	s_and_saveexec_b64 s[0:1], s[4:5]
	s_cbranch_execz .LBB2_6
; %bb.3:
	v_and_b32_e32 v5, -2, v4
	s_mov_b32 s4, s21
	s_mov_b32 s5, s22
	;; [unrolled: 1-line block ×5, first 2 shown]
	s_mov_b64 s[2:3], 0
	v_mov_b32_e32 v6, v5
	v_mov_b64_e32 v[2:3], v[0:1]
.LBB2_4:                                ; =>This Inner Loop Header: Depth=1
	v_add_u32_e32 v8, s12, v2
	v_add_u32_e32 v10, s6, v3
	v_ashrrev_i32_e32 v9, 31, v8
	v_ashrrev_i32_e32 v11, 31, v10
	v_lshl_add_u64 v[28:29], v[8:9], 4, s[10:11]
	v_add_u32_e32 v16, s20, v8
	v_add_u32_e32 v18, s7, v10
	;; [unrolled: 1-line block ×6, first 2 shown]
	v_lshl_add_u64 v[30:31], v[10:11], 4, s[10:11]
	global_load_dwordx4 v[8:11], v[28:29], off
	global_load_dwordx4 v[12:15], v[30:31], off
	v_ashrrev_i32_e32 v17, 31, v16
	v_ashrrev_i32_e32 v19, 31, v18
	;; [unrolled: 1-line block ×6, first 2 shown]
	v_lshl_add_u64 v[40:41], v[16:17], 4, s[10:11]
	v_lshl_add_u64 v[42:43], v[18:19], 4, s[10:11]
	;; [unrolled: 1-line block ×6, first 2 shown]
	global_load_dwordx4 v[16:19], v[40:41], off
	global_load_dwordx4 v[20:23], v[42:43], off
	;; [unrolled: 1-line block ×6, first 2 shown]
	v_add_u32_e32 v40, s14, v2
	v_add_u32_e32 v6, -2, v6
	v_add_u32_e32 v42, s15, v3
	v_ashrrev_i32_e32 v41, 31, v40
	v_cmp_eq_u32_e32 vcc, 0, v6
	v_add_u32_e32 v3, 2, v3
	v_add_u32_e32 v2, 2, v2
	v_ashrrev_i32_e32 v43, 31, v42
	v_lshl_add_u64 v[40:41], v[40:41], 4, s[8:9]
	s_or_b64 s[2:3], vcc, s[2:3]
	v_lshl_add_u64 v[42:43], v[42:43], 4, s[8:9]
	s_waitcnt vmcnt(7)
	v_mov_b32_e32 v44, v8
	s_waitcnt vmcnt(6)
	v_mov_b32_e32 v45, v12
	v_mov_b32_e32 v12, v9
	;; [unrolled: 1-line block ×5, first 2 shown]
	v_pk_add_f32 v[10:11], v[44:45], 0 op_sel_hi:[1,0]
	v_pk_add_f32 v[12:13], v[12:13], 0 op_sel_hi:[1,0]
	;; [unrolled: 1-line block ×4, first 2 shown]
	s_waitcnt vmcnt(5)
	v_mov_b32_e32 v44, v16
	s_waitcnt vmcnt(4)
	v_mov_b32_e32 v45, v20
	v_mov_b32_e32 v20, v17
	;; [unrolled: 1-line block ×5, first 2 shown]
	s_waitcnt vmcnt(3)
	v_mov_b32_e32 v18, v24
	s_waitcnt vmcnt(2)
	v_mov_b32_e32 v19, v28
	v_mov_b32_e32 v28, v25
	;; [unrolled: 1-line block ×5, first 2 shown]
	v_pk_add_f32 v[10:11], v[10:11], v[44:45]
	v_pk_add_f32 v[12:13], v[12:13], v[20:21]
	v_pk_add_f32 v[8:9], v[8:9], v[16:17]
	v_pk_add_f32 v[14:15], v[14:15], v[22:23]
	s_waitcnt vmcnt(1)
	v_mov_b32_e32 v26, v32
	s_waitcnt vmcnt(0)
	v_mov_b32_e32 v27, v36
	v_mov_b32_e32 v36, v33
	;; [unrolled: 1-line block ×5, first 2 shown]
	v_pk_add_f32 v[10:11], v[10:11], v[18:19]
	v_pk_add_f32 v[12:13], v[12:13], v[28:29]
	;; [unrolled: 1-line block ×8, first 2 shown]
	v_mov_b32_e32 v12, v18
	v_mov_b32_e32 v13, v8
	;; [unrolled: 1-line block ×6, first 2 shown]
	global_store_dwordx4 v[40:41], v[12:15], off
	global_store_dwordx4 v[42:43], v[8:11], off
	s_andn2_b64 exec, exec, s[2:3]
	s_cbranch_execnz .LBB2_4
; %bb.5:
	s_or_b64 exec, exec, s[2:3]
	v_cmp_ne_u32_e32 vcc, v4, v5
	v_add_u32_e32 v0, v0, v5
	s_orn2_b64 s[2:3], vcc, exec
.LBB2_6:
	s_or_b64 exec, exec, s[0:1]
	s_andn2_b64 s[0:1], s[16:17], exec
	s_and_b64 s[2:3], s[2:3], exec
	s_or_b64 s[16:17], s[0:1], s[2:3]
.LBB2_7:
	s_or_b64 exec, exec, s[18:19]
	s_and_b64 exec, exec, s[16:17]
	s_cbranch_execz .LBB2_10
; %bb.8:
	v_ashrrev_i32_e32 v1, 31, v0
	s_ashr_i32 s15, s14, 31
	v_lshl_add_u64 v[2:3], v[0:1], 0, s[14:15]
	v_lshl_add_u64 v[2:3], v[2:3], 4, s[8:9]
	s_add_i32 s4, s20, s12
	v_lshl_add_u64 v[2:3], v[2:3], 0, 8
	s_lshl_b32 s0, s13, 4
	s_mov_b32 s1, 0
	s_add_i32 s5, s21, s12
	s_add_i32 s6, s22, s12
	s_mov_b64 s[2:3], 0
.LBB2_9:                                ; =>This Inner Loop Header: Depth=1
	v_add_u32_e32 v4, s12, v0
	v_add_u32_e32 v6, s4, v0
	v_add_u32_e32 v8, s5, v0
	v_add_u32_e32 v10, s6, v0
	v_ashrrev_i32_e32 v5, 31, v4
	v_ashrrev_i32_e32 v7, 31, v6
	;; [unrolled: 1-line block ×4, first 2 shown]
	v_lshl_add_u64 v[20:21], v[4:5], 4, s[10:11]
	v_lshl_add_u64 v[22:23], v[6:7], 4, s[10:11]
	;; [unrolled: 1-line block ×4, first 2 shown]
	global_load_dwordx4 v[4:7], v[20:21], off
	global_load_dwordx4 v[8:11], v[22:23], off
	;; [unrolled: 1-line block ×4, first 2 shown]
	v_add_u32_e32 v0, s13, v0
	v_cmp_le_i32_e32 vcc, s20, v0
	s_or_b64 s[2:3], vcc, s[2:3]
	s_waitcnt vmcnt(3)
	v_pk_add_f32 v[4:5], v[4:5], 0 op_sel_hi:[1,0]
	v_pk_add_f32 v[6:7], v[6:7], 0 op_sel_hi:[1,0]
	s_waitcnt vmcnt(2)
	v_pk_add_f32 v[4:5], v[4:5], v[8:9]
	v_pk_add_f32 v[6:7], v[6:7], v[10:11]
	s_waitcnt vmcnt(1)
	v_pk_add_f32 v[4:5], v[4:5], v[12:13]
	v_pk_add_f32 v[6:7], v[6:7], v[14:15]
	;; [unrolled: 3-line block ×3, first 2 shown]
	global_store_dwordx4 v[2:3], v[4:7], off offset:-8
	v_lshl_add_u64 v[2:3], v[2:3], 0, s[0:1]
	s_andn2_b64 exec, exec, s[2:3]
	s_cbranch_execnz .LBB2_9
.LBB2_10:
	s_endpgm
	.section	.rodata,"a",@progbits
	.p2align	6, 0x0
	.amdhsa_kernel _Z19moe_sum_kernel_vec4ILi4EEvPfPKfi
		.amdhsa_group_segment_fixed_size 0
		.amdhsa_private_segment_fixed_size 0
		.amdhsa_kernarg_size 280
		.amdhsa_user_sgpr_count 2
		.amdhsa_user_sgpr_dispatch_ptr 0
		.amdhsa_user_sgpr_queue_ptr 0
		.amdhsa_user_sgpr_kernarg_segment_ptr 1
		.amdhsa_user_sgpr_dispatch_id 0
		.amdhsa_user_sgpr_kernarg_preload_length 0
		.amdhsa_user_sgpr_kernarg_preload_offset 0
		.amdhsa_user_sgpr_private_segment_size 0
		.amdhsa_uses_dynamic_stack 0
		.amdhsa_enable_private_segment 0
		.amdhsa_system_sgpr_workgroup_id_x 1
		.amdhsa_system_sgpr_workgroup_id_y 0
		.amdhsa_system_sgpr_workgroup_id_z 0
		.amdhsa_system_sgpr_workgroup_info 0
		.amdhsa_system_vgpr_workitem_id 0
		.amdhsa_next_free_vgpr 52
		.amdhsa_next_free_sgpr 26
		.amdhsa_accum_offset 52
		.amdhsa_reserve_vcc 1
		.amdhsa_float_round_mode_32 0
		.amdhsa_float_round_mode_16_64 0
		.amdhsa_float_denorm_mode_32 3
		.amdhsa_float_denorm_mode_16_64 3
		.amdhsa_dx10_clamp 1
		.amdhsa_ieee_mode 1
		.amdhsa_fp16_overflow 0
		.amdhsa_tg_split 0
		.amdhsa_exception_fp_ieee_invalid_op 0
		.amdhsa_exception_fp_denorm_src 0
		.amdhsa_exception_fp_ieee_div_zero 0
		.amdhsa_exception_fp_ieee_overflow 0
		.amdhsa_exception_fp_ieee_underflow 0
		.amdhsa_exception_fp_ieee_inexact 0
		.amdhsa_exception_int_div_zero 0
	.end_amdhsa_kernel
	.section	.text._Z19moe_sum_kernel_vec4ILi4EEvPfPKfi,"axG",@progbits,_Z19moe_sum_kernel_vec4ILi4EEvPfPKfi,comdat
.Lfunc_end2:
	.size	_Z19moe_sum_kernel_vec4ILi4EEvPfPKfi, .Lfunc_end2-_Z19moe_sum_kernel_vec4ILi4EEvPfPKfi
                                        ; -- End function
	.set _Z19moe_sum_kernel_vec4ILi4EEvPfPKfi.num_vgpr, 52
	.set _Z19moe_sum_kernel_vec4ILi4EEvPfPKfi.num_agpr, 0
	.set _Z19moe_sum_kernel_vec4ILi4EEvPfPKfi.numbered_sgpr, 26
	.set _Z19moe_sum_kernel_vec4ILi4EEvPfPKfi.num_named_barrier, 0
	.set _Z19moe_sum_kernel_vec4ILi4EEvPfPKfi.private_seg_size, 0
	.set _Z19moe_sum_kernel_vec4ILi4EEvPfPKfi.uses_vcc, 1
	.set _Z19moe_sum_kernel_vec4ILi4EEvPfPKfi.uses_flat_scratch, 0
	.set _Z19moe_sum_kernel_vec4ILi4EEvPfPKfi.has_dyn_sized_stack, 0
	.set _Z19moe_sum_kernel_vec4ILi4EEvPfPKfi.has_recursion, 0
	.set _Z19moe_sum_kernel_vec4ILi4EEvPfPKfi.has_indirect_call, 0
	.section	.AMDGPU.csdata,"",@progbits
; Kernel info:
; codeLenInByte = 1304
; TotalNumSgprs: 32
; NumVgprs: 52
; NumAgprs: 0
; TotalNumVgprs: 52
; ScratchSize: 0
; MemoryBound: 0
; FloatMode: 240
; IeeeMode: 1
; LDSByteSize: 0 bytes/workgroup (compile time only)
; SGPRBlocks: 3
; VGPRBlocks: 6
; NumSGPRsForWavesPerEU: 32
; NumVGPRsForWavesPerEU: 52
; AccumOffset: 52
; Occupancy: 8
; WaveLimiterHint : 0
; COMPUTE_PGM_RSRC2:SCRATCH_EN: 0
; COMPUTE_PGM_RSRC2:USER_SGPR: 2
; COMPUTE_PGM_RSRC2:TRAP_HANDLER: 0
; COMPUTE_PGM_RSRC2:TGID_X_EN: 1
; COMPUTE_PGM_RSRC2:TGID_Y_EN: 0
; COMPUTE_PGM_RSRC2:TGID_Z_EN: 0
; COMPUTE_PGM_RSRC2:TIDIG_COMP_CNT: 0
; COMPUTE_PGM_RSRC3_GFX90A:ACCUM_OFFSET: 12
; COMPUTE_PGM_RSRC3_GFX90A:TG_SPLIT: 0
	.section	.text._Z14moe_sum_kernelIfLi2EEvPT_PKS0_i,"axG",@progbits,_Z14moe_sum_kernelIfLi2EEvPT_PKS0_i,comdat
	.protected	_Z14moe_sum_kernelIfLi2EEvPT_PKS0_i ; -- Begin function _Z14moe_sum_kernelIfLi2EEvPT_PKS0_i
	.globl	_Z14moe_sum_kernelIfLi2EEvPT_PKS0_i
	.p2align	8
	.type	_Z14moe_sum_kernelIfLi2EEvPT_PKS0_i,@function
_Z14moe_sum_kernelIfLi2EEvPT_PKS0_i:    ; @_Z14moe_sum_kernelIfLi2EEvPT_PKS0_i
; %bb.0:
	s_load_dword s4, s[0:1], 0x10
	s_waitcnt lgkmcnt(0)
	v_cmp_gt_i32_e32 vcc, s4, v0
	s_and_saveexec_b64 s[6:7], vcc
	s_cbranch_execz .LBB3_3
; %bb.1:
	s_load_dwordx4 s[8:11], s[0:1], 0x0
	s_load_dword s12, s[0:1], 0x24
	s_mul_hi_u32 s3, s4, s2
	s_mul_i32 s2, s4, s2
	s_lshl_b64 s[6:7], s[2:3], 3
	s_waitcnt lgkmcnt(0)
	s_add_u32 s0, s10, s6
	s_addc_u32 s1, s11, s7
	s_lshl_b64 s[2:3], s[2:3], 2
	s_add_u32 s2, s8, s2
	s_mov_b32 s5, 0
	s_addc_u32 s3, s9, s3
	s_and_b32 s8, s12, 0xffff
	s_mov_b64 s[6:7], 0
.LBB3_2:                                ; =>This Inner Loop Header: Depth=1
	v_ashrrev_i32_e32 v1, 31, v0
	v_lshlrev_b64 v[2:3], 2, v[0:1]
	v_lshl_add_u64 v[4:5], s[0:1], 0, v[2:3]
	v_lshl_add_u64 v[6:7], s[4:5], 2, v[4:5]
	global_load_dword v1, v[4:5], off
	global_load_dword v8, v[6:7], off
	v_add_u32_e32 v0, s8, v0
	v_cmp_le_i32_e32 vcc, s4, v0
	v_lshl_add_u64 v[2:3], s[2:3], 0, v[2:3]
	s_or_b64 s[6:7], vcc, s[6:7]
	s_waitcnt vmcnt(1)
	v_add_f32_e32 v1, 0, v1
	s_waitcnt vmcnt(0)
	v_add_f32_e32 v1, v1, v8
	global_store_dword v[2:3], v1, off
	s_andn2_b64 exec, exec, s[6:7]
	s_cbranch_execnz .LBB3_2
.LBB3_3:
	s_endpgm
	.section	.rodata,"a",@progbits
	.p2align	6, 0x0
	.amdhsa_kernel _Z14moe_sum_kernelIfLi2EEvPT_PKS0_i
		.amdhsa_group_segment_fixed_size 0
		.amdhsa_private_segment_fixed_size 0
		.amdhsa_kernarg_size 280
		.amdhsa_user_sgpr_count 2
		.amdhsa_user_sgpr_dispatch_ptr 0
		.amdhsa_user_sgpr_queue_ptr 0
		.amdhsa_user_sgpr_kernarg_segment_ptr 1
		.amdhsa_user_sgpr_dispatch_id 0
		.amdhsa_user_sgpr_kernarg_preload_length 0
		.amdhsa_user_sgpr_kernarg_preload_offset 0
		.amdhsa_user_sgpr_private_segment_size 0
		.amdhsa_uses_dynamic_stack 0
		.amdhsa_enable_private_segment 0
		.amdhsa_system_sgpr_workgroup_id_x 1
		.amdhsa_system_sgpr_workgroup_id_y 0
		.amdhsa_system_sgpr_workgroup_id_z 0
		.amdhsa_system_sgpr_workgroup_info 0
		.amdhsa_system_vgpr_workitem_id 0
		.amdhsa_next_free_vgpr 9
		.amdhsa_next_free_sgpr 13
		.amdhsa_accum_offset 12
		.amdhsa_reserve_vcc 1
		.amdhsa_float_round_mode_32 0
		.amdhsa_float_round_mode_16_64 0
		.amdhsa_float_denorm_mode_32 3
		.amdhsa_float_denorm_mode_16_64 3
		.amdhsa_dx10_clamp 1
		.amdhsa_ieee_mode 1
		.amdhsa_fp16_overflow 0
		.amdhsa_tg_split 0
		.amdhsa_exception_fp_ieee_invalid_op 0
		.amdhsa_exception_fp_denorm_src 0
		.amdhsa_exception_fp_ieee_div_zero 0
		.amdhsa_exception_fp_ieee_overflow 0
		.amdhsa_exception_fp_ieee_underflow 0
		.amdhsa_exception_fp_ieee_inexact 0
		.amdhsa_exception_int_div_zero 0
	.end_amdhsa_kernel
	.section	.text._Z14moe_sum_kernelIfLi2EEvPT_PKS0_i,"axG",@progbits,_Z14moe_sum_kernelIfLi2EEvPT_PKS0_i,comdat
.Lfunc_end3:
	.size	_Z14moe_sum_kernelIfLi2EEvPT_PKS0_i, .Lfunc_end3-_Z14moe_sum_kernelIfLi2EEvPT_PKS0_i
                                        ; -- End function
	.set _Z14moe_sum_kernelIfLi2EEvPT_PKS0_i.num_vgpr, 9
	.set _Z14moe_sum_kernelIfLi2EEvPT_PKS0_i.num_agpr, 0
	.set _Z14moe_sum_kernelIfLi2EEvPT_PKS0_i.numbered_sgpr, 13
	.set _Z14moe_sum_kernelIfLi2EEvPT_PKS0_i.num_named_barrier, 0
	.set _Z14moe_sum_kernelIfLi2EEvPT_PKS0_i.private_seg_size, 0
	.set _Z14moe_sum_kernelIfLi2EEvPT_PKS0_i.uses_vcc, 1
	.set _Z14moe_sum_kernelIfLi2EEvPT_PKS0_i.uses_flat_scratch, 0
	.set _Z14moe_sum_kernelIfLi2EEvPT_PKS0_i.has_dyn_sized_stack, 0
	.set _Z14moe_sum_kernelIfLi2EEvPT_PKS0_i.has_recursion, 0
	.set _Z14moe_sum_kernelIfLi2EEvPT_PKS0_i.has_indirect_call, 0
	.section	.AMDGPU.csdata,"",@progbits
; Kernel info:
; codeLenInByte = 192
; TotalNumSgprs: 19
; NumVgprs: 9
; NumAgprs: 0
; TotalNumVgprs: 9
; ScratchSize: 0
; MemoryBound: 0
; FloatMode: 240
; IeeeMode: 1
; LDSByteSize: 0 bytes/workgroup (compile time only)
; SGPRBlocks: 2
; VGPRBlocks: 1
; NumSGPRsForWavesPerEU: 19
; NumVGPRsForWavesPerEU: 9
; AccumOffset: 12
; Occupancy: 8
; WaveLimiterHint : 0
; COMPUTE_PGM_RSRC2:SCRATCH_EN: 0
; COMPUTE_PGM_RSRC2:USER_SGPR: 2
; COMPUTE_PGM_RSRC2:TRAP_HANDLER: 0
; COMPUTE_PGM_RSRC2:TGID_X_EN: 1
; COMPUTE_PGM_RSRC2:TGID_Y_EN: 0
; COMPUTE_PGM_RSRC2:TGID_Z_EN: 0
; COMPUTE_PGM_RSRC2:TIDIG_COMP_CNT: 0
; COMPUTE_PGM_RSRC3_GFX90A:ACCUM_OFFSET: 2
; COMPUTE_PGM_RSRC3_GFX90A:TG_SPLIT: 0
	.section	.text._Z14moe_sum_kernelIfLi3EEvPT_PKS0_i,"axG",@progbits,_Z14moe_sum_kernelIfLi3EEvPT_PKS0_i,comdat
	.protected	_Z14moe_sum_kernelIfLi3EEvPT_PKS0_i ; -- Begin function _Z14moe_sum_kernelIfLi3EEvPT_PKS0_i
	.globl	_Z14moe_sum_kernelIfLi3EEvPT_PKS0_i
	.p2align	8
	.type	_Z14moe_sum_kernelIfLi3EEvPT_PKS0_i,@function
_Z14moe_sum_kernelIfLi3EEvPT_PKS0_i:    ; @_Z14moe_sum_kernelIfLi3EEvPT_PKS0_i
; %bb.0:
	s_load_dword s4, s[0:1], 0x10
	s_waitcnt lgkmcnt(0)
	v_cmp_gt_i32_e32 vcc, s4, v0
	s_and_saveexec_b64 s[6:7], vcc
	s_cbranch_execz .LBB4_3
; %bb.1:
	s_load_dwordx4 s[8:11], s[0:1], 0x0
	s_load_dword s12, s[0:1], 0x24
	s_mul_hi_u32 s3, s4, s2
	s_mul_i32 s2, s4, s2
	s_mul_i32 s6, s3, 12
	s_mul_hi_u32 s7, s2, 12
	s_add_i32 s7, s7, s6
	s_mul_i32 s6, s2, 12
	s_waitcnt lgkmcnt(0)
	s_add_u32 s0, s10, s6
	s_addc_u32 s1, s11, s7
	s_lshl_b64 s[2:3], s[2:3], 2
	s_mov_b32 s5, 0
	s_add_u32 s2, s8, s2
	s_addc_u32 s3, s9, s3
	s_and_b32 s10, s12, 0xffff
	s_lshl_b32 s6, s4, 1
	s_mov_b32 s7, s5
	s_mov_b64 s[8:9], 0
.LBB4_2:                                ; =>This Inner Loop Header: Depth=1
	v_ashrrev_i32_e32 v1, 31, v0
	v_lshlrev_b64 v[2:3], 2, v[0:1]
	v_lshl_add_u64 v[4:5], s[0:1], 0, v[2:3]
	v_lshl_add_u64 v[6:7], s[4:5], 2, v[4:5]
	;; [unrolled: 1-line block ×3, first 2 shown]
	global_load_dword v1, v[4:5], off
	global_load_dword v10, v[6:7], off
	;; [unrolled: 1-line block ×3, first 2 shown]
	v_add_u32_e32 v0, s10, v0
	v_cmp_le_i32_e32 vcc, s4, v0
	v_lshl_add_u64 v[2:3], s[2:3], 0, v[2:3]
	s_or_b64 s[8:9], vcc, s[8:9]
	s_waitcnt vmcnt(2)
	v_add_f32_e32 v1, 0, v1
	s_waitcnt vmcnt(1)
	v_add_f32_e32 v1, v1, v10
	;; [unrolled: 2-line block ×3, first 2 shown]
	global_store_dword v[2:3], v1, off
	s_andn2_b64 exec, exec, s[8:9]
	s_cbranch_execnz .LBB4_2
.LBB4_3:
	s_endpgm
	.section	.rodata,"a",@progbits
	.p2align	6, 0x0
	.amdhsa_kernel _Z14moe_sum_kernelIfLi3EEvPT_PKS0_i
		.amdhsa_group_segment_fixed_size 0
		.amdhsa_private_segment_fixed_size 0
		.amdhsa_kernarg_size 280
		.amdhsa_user_sgpr_count 2
		.amdhsa_user_sgpr_dispatch_ptr 0
		.amdhsa_user_sgpr_queue_ptr 0
		.amdhsa_user_sgpr_kernarg_segment_ptr 1
		.amdhsa_user_sgpr_dispatch_id 0
		.amdhsa_user_sgpr_kernarg_preload_length 0
		.amdhsa_user_sgpr_kernarg_preload_offset 0
		.amdhsa_user_sgpr_private_segment_size 0
		.amdhsa_uses_dynamic_stack 0
		.amdhsa_enable_private_segment 0
		.amdhsa_system_sgpr_workgroup_id_x 1
		.amdhsa_system_sgpr_workgroup_id_y 0
		.amdhsa_system_sgpr_workgroup_id_z 0
		.amdhsa_system_sgpr_workgroup_info 0
		.amdhsa_system_vgpr_workitem_id 0
		.amdhsa_next_free_vgpr 12
		.amdhsa_next_free_sgpr 13
		.amdhsa_accum_offset 12
		.amdhsa_reserve_vcc 1
		.amdhsa_float_round_mode_32 0
		.amdhsa_float_round_mode_16_64 0
		.amdhsa_float_denorm_mode_32 3
		.amdhsa_float_denorm_mode_16_64 3
		.amdhsa_dx10_clamp 1
		.amdhsa_ieee_mode 1
		.amdhsa_fp16_overflow 0
		.amdhsa_tg_split 0
		.amdhsa_exception_fp_ieee_invalid_op 0
		.amdhsa_exception_fp_denorm_src 0
		.amdhsa_exception_fp_ieee_div_zero 0
		.amdhsa_exception_fp_ieee_overflow 0
		.amdhsa_exception_fp_ieee_underflow 0
		.amdhsa_exception_fp_ieee_inexact 0
		.amdhsa_exception_int_div_zero 0
	.end_amdhsa_kernel
	.section	.text._Z14moe_sum_kernelIfLi3EEvPT_PKS0_i,"axG",@progbits,_Z14moe_sum_kernelIfLi3EEvPT_PKS0_i,comdat
.Lfunc_end4:
	.size	_Z14moe_sum_kernelIfLi3EEvPT_PKS0_i, .Lfunc_end4-_Z14moe_sum_kernelIfLi3EEvPT_PKS0_i
                                        ; -- End function
	.set _Z14moe_sum_kernelIfLi3EEvPT_PKS0_i.num_vgpr, 12
	.set _Z14moe_sum_kernelIfLi3EEvPT_PKS0_i.num_agpr, 0
	.set _Z14moe_sum_kernelIfLi3EEvPT_PKS0_i.numbered_sgpr, 13
	.set _Z14moe_sum_kernelIfLi3EEvPT_PKS0_i.num_named_barrier, 0
	.set _Z14moe_sum_kernelIfLi3EEvPT_PKS0_i.private_seg_size, 0
	.set _Z14moe_sum_kernelIfLi3EEvPT_PKS0_i.uses_vcc, 1
	.set _Z14moe_sum_kernelIfLi3EEvPT_PKS0_i.uses_flat_scratch, 0
	.set _Z14moe_sum_kernelIfLi3EEvPT_PKS0_i.has_dyn_sized_stack, 0
	.set _Z14moe_sum_kernelIfLi3EEvPT_PKS0_i.has_recursion, 0
	.set _Z14moe_sum_kernelIfLi3EEvPT_PKS0_i.has_indirect_call, 0
	.section	.AMDGPU.csdata,"",@progbits
; Kernel info:
; codeLenInByte = 236
; TotalNumSgprs: 19
; NumVgprs: 12
; NumAgprs: 0
; TotalNumVgprs: 12
; ScratchSize: 0
; MemoryBound: 0
; FloatMode: 240
; IeeeMode: 1
; LDSByteSize: 0 bytes/workgroup (compile time only)
; SGPRBlocks: 2
; VGPRBlocks: 1
; NumSGPRsForWavesPerEU: 19
; NumVGPRsForWavesPerEU: 12
; AccumOffset: 12
; Occupancy: 8
; WaveLimiterHint : 0
; COMPUTE_PGM_RSRC2:SCRATCH_EN: 0
; COMPUTE_PGM_RSRC2:USER_SGPR: 2
; COMPUTE_PGM_RSRC2:TRAP_HANDLER: 0
; COMPUTE_PGM_RSRC2:TGID_X_EN: 1
; COMPUTE_PGM_RSRC2:TGID_Y_EN: 0
; COMPUTE_PGM_RSRC2:TGID_Z_EN: 0
; COMPUTE_PGM_RSRC2:TIDIG_COMP_CNT: 0
; COMPUTE_PGM_RSRC3_GFX90A:ACCUM_OFFSET: 2
; COMPUTE_PGM_RSRC3_GFX90A:TG_SPLIT: 0
	.section	.text._Z14moe_sum_kernelIfLi4EEvPT_PKS0_i,"axG",@progbits,_Z14moe_sum_kernelIfLi4EEvPT_PKS0_i,comdat
	.protected	_Z14moe_sum_kernelIfLi4EEvPT_PKS0_i ; -- Begin function _Z14moe_sum_kernelIfLi4EEvPT_PKS0_i
	.globl	_Z14moe_sum_kernelIfLi4EEvPT_PKS0_i
	.p2align	8
	.type	_Z14moe_sum_kernelIfLi4EEvPT_PKS0_i,@function
_Z14moe_sum_kernelIfLi4EEvPT_PKS0_i:    ; @_Z14moe_sum_kernelIfLi4EEvPT_PKS0_i
; %bb.0:
	s_load_dword s4, s[0:1], 0x10
	s_waitcnt lgkmcnt(0)
	v_cmp_gt_i32_e32 vcc, s4, v0
	s_and_saveexec_b64 s[6:7], vcc
	s_cbranch_execz .LBB5_3
; %bb.1:
	s_load_dwordx4 s[8:11], s[0:1], 0x0
	s_load_dword s12, s[0:1], 0x24
	s_mul_hi_u32 s3, s4, s2
	s_mul_i32 s2, s4, s2
	s_lshl_b64 s[6:7], s[2:3], 4
	s_waitcnt lgkmcnt(0)
	s_add_u32 s0, s10, s6
	s_addc_u32 s1, s11, s7
	s_lshl_b64 s[2:3], s[2:3], 2
	s_mov_b32 s5, 0
	s_add_u32 s2, s8, s2
	s_addc_u32 s3, s9, s3
	s_and_b32 s12, s12, 0xffff
	s_lshl_b32 s6, s4, 1
	s_mov_b32 s7, s5
	s_mul_i32 s8, s4, 3
	s_mov_b32 s9, s5
	s_mov_b64 s[10:11], 0
.LBB5_2:                                ; =>This Inner Loop Header: Depth=1
	v_ashrrev_i32_e32 v1, 31, v0
	v_lshlrev_b64 v[2:3], 2, v[0:1]
	v_lshl_add_u64 v[4:5], s[0:1], 0, v[2:3]
	v_lshl_add_u64 v[6:7], s[4:5], 2, v[4:5]
	;; [unrolled: 1-line block ×4, first 2 shown]
	global_load_dword v1, v[4:5], off
	global_load_dword v12, v[6:7], off
	global_load_dword v13, v[8:9], off
	global_load_dword v14, v[10:11], off
	v_add_u32_e32 v0, s12, v0
	v_cmp_le_i32_e32 vcc, s4, v0
	v_lshl_add_u64 v[2:3], s[2:3], 0, v[2:3]
	s_or_b64 s[10:11], vcc, s[10:11]
	s_waitcnt vmcnt(3)
	v_add_f32_e32 v1, 0, v1
	s_waitcnt vmcnt(2)
	v_add_f32_e32 v1, v1, v12
	;; [unrolled: 2-line block ×4, first 2 shown]
	global_store_dword v[2:3], v1, off
	s_andn2_b64 exec, exec, s[10:11]
	s_cbranch_execnz .LBB5_2
.LBB5_3:
	s_endpgm
	.section	.rodata,"a",@progbits
	.p2align	6, 0x0
	.amdhsa_kernel _Z14moe_sum_kernelIfLi4EEvPT_PKS0_i
		.amdhsa_group_segment_fixed_size 0
		.amdhsa_private_segment_fixed_size 0
		.amdhsa_kernarg_size 280
		.amdhsa_user_sgpr_count 2
		.amdhsa_user_sgpr_dispatch_ptr 0
		.amdhsa_user_sgpr_queue_ptr 0
		.amdhsa_user_sgpr_kernarg_segment_ptr 1
		.amdhsa_user_sgpr_dispatch_id 0
		.amdhsa_user_sgpr_kernarg_preload_length 0
		.amdhsa_user_sgpr_kernarg_preload_offset 0
		.amdhsa_user_sgpr_private_segment_size 0
		.amdhsa_uses_dynamic_stack 0
		.amdhsa_enable_private_segment 0
		.amdhsa_system_sgpr_workgroup_id_x 1
		.amdhsa_system_sgpr_workgroup_id_y 0
		.amdhsa_system_sgpr_workgroup_id_z 0
		.amdhsa_system_sgpr_workgroup_info 0
		.amdhsa_system_vgpr_workitem_id 0
		.amdhsa_next_free_vgpr 15
		.amdhsa_next_free_sgpr 13
		.amdhsa_accum_offset 16
		.amdhsa_reserve_vcc 1
		.amdhsa_float_round_mode_32 0
		.amdhsa_float_round_mode_16_64 0
		.amdhsa_float_denorm_mode_32 3
		.amdhsa_float_denorm_mode_16_64 3
		.amdhsa_dx10_clamp 1
		.amdhsa_ieee_mode 1
		.amdhsa_fp16_overflow 0
		.amdhsa_tg_split 0
		.amdhsa_exception_fp_ieee_invalid_op 0
		.amdhsa_exception_fp_denorm_src 0
		.amdhsa_exception_fp_ieee_div_zero 0
		.amdhsa_exception_fp_ieee_overflow 0
		.amdhsa_exception_fp_ieee_underflow 0
		.amdhsa_exception_fp_ieee_inexact 0
		.amdhsa_exception_int_div_zero 0
	.end_amdhsa_kernel
	.section	.text._Z14moe_sum_kernelIfLi4EEvPT_PKS0_i,"axG",@progbits,_Z14moe_sum_kernelIfLi4EEvPT_PKS0_i,comdat
.Lfunc_end5:
	.size	_Z14moe_sum_kernelIfLi4EEvPT_PKS0_i, .Lfunc_end5-_Z14moe_sum_kernelIfLi4EEvPT_PKS0_i
                                        ; -- End function
	.set _Z14moe_sum_kernelIfLi4EEvPT_PKS0_i.num_vgpr, 15
	.set _Z14moe_sum_kernelIfLi4EEvPT_PKS0_i.num_agpr, 0
	.set _Z14moe_sum_kernelIfLi4EEvPT_PKS0_i.numbered_sgpr, 13
	.set _Z14moe_sum_kernelIfLi4EEvPT_PKS0_i.num_named_barrier, 0
	.set _Z14moe_sum_kernelIfLi4EEvPT_PKS0_i.private_seg_size, 0
	.set _Z14moe_sum_kernelIfLi4EEvPT_PKS0_i.uses_vcc, 1
	.set _Z14moe_sum_kernelIfLi4EEvPT_PKS0_i.uses_flat_scratch, 0
	.set _Z14moe_sum_kernelIfLi4EEvPT_PKS0_i.has_dyn_sized_stack, 0
	.set _Z14moe_sum_kernelIfLi4EEvPT_PKS0_i.has_recursion, 0
	.set _Z14moe_sum_kernelIfLi4EEvPT_PKS0_i.has_indirect_call, 0
	.section	.AMDGPU.csdata,"",@progbits
; Kernel info:
; codeLenInByte = 256
; TotalNumSgprs: 19
; NumVgprs: 15
; NumAgprs: 0
; TotalNumVgprs: 15
; ScratchSize: 0
; MemoryBound: 0
; FloatMode: 240
; IeeeMode: 1
; LDSByteSize: 0 bytes/workgroup (compile time only)
; SGPRBlocks: 2
; VGPRBlocks: 1
; NumSGPRsForWavesPerEU: 19
; NumVGPRsForWavesPerEU: 15
; AccumOffset: 16
; Occupancy: 8
; WaveLimiterHint : 0
; COMPUTE_PGM_RSRC2:SCRATCH_EN: 0
; COMPUTE_PGM_RSRC2:USER_SGPR: 2
; COMPUTE_PGM_RSRC2:TRAP_HANDLER: 0
; COMPUTE_PGM_RSRC2:TGID_X_EN: 1
; COMPUTE_PGM_RSRC2:TGID_Y_EN: 0
; COMPUTE_PGM_RSRC2:TGID_Z_EN: 0
; COMPUTE_PGM_RSRC2:TIDIG_COMP_CNT: 0
; COMPUTE_PGM_RSRC3_GFX90A:ACCUM_OFFSET: 3
; COMPUTE_PGM_RSRC3_GFX90A:TG_SPLIT: 0
	.section	.AMDGPU.gpr_maximums,"",@progbits
	.set amdgpu.max_num_vgpr, 0
	.set amdgpu.max_num_agpr, 0
	.set amdgpu.max_num_sgpr, 0
	.section	.AMDGPU.csdata,"",@progbits
	.type	__hip_cuid_623075bd0a39a169,@object ; @__hip_cuid_623075bd0a39a169
	.section	.bss,"aw",@nobits
	.globl	__hip_cuid_623075bd0a39a169
__hip_cuid_623075bd0a39a169:
	.byte	0                               ; 0x0
	.size	__hip_cuid_623075bd0a39a169, 1

	.ident	"AMD clang version 22.0.0git (https://github.com/RadeonOpenCompute/llvm-project roc-7.2.4 26084 f58b06dce1f9c15707c5f808fd002e18c2accf7e)"
	.section	".note.GNU-stack","",@progbits
	.addrsig
	.addrsig_sym __hip_cuid_623075bd0a39a169
	.amdgpu_metadata
---
amdhsa.kernels:
  - .agpr_count:     0
    .args:
      - .actual_access:  write_only
        .address_space:  global
        .offset:         0
        .size:           8
        .value_kind:     global_buffer
      - .actual_access:  read_only
        .address_space:  global
        .offset:         8
        .size:           8
        .value_kind:     global_buffer
      - .offset:         16
        .size:           4
        .value_kind:     by_value
      - .offset:         24
        .size:           4
        .value_kind:     hidden_block_count_x
      - .offset:         28
        .size:           4
        .value_kind:     hidden_block_count_y
      - .offset:         32
        .size:           4
        .value_kind:     hidden_block_count_z
      - .offset:         36
        .size:           2
        .value_kind:     hidden_group_size_x
      - .offset:         38
        .size:           2
        .value_kind:     hidden_group_size_y
      - .offset:         40
        .size:           2
        .value_kind:     hidden_group_size_z
      - .offset:         42
        .size:           2
        .value_kind:     hidden_remainder_x
      - .offset:         44
        .size:           2
        .value_kind:     hidden_remainder_y
      - .offset:         46
        .size:           2
        .value_kind:     hidden_remainder_z
      - .offset:         64
        .size:           8
        .value_kind:     hidden_global_offset_x
      - .offset:         72
        .size:           8
        .value_kind:     hidden_global_offset_y
      - .offset:         80
        .size:           8
        .value_kind:     hidden_global_offset_z
      - .offset:         88
        .size:           2
        .value_kind:     hidden_grid_dims
    .group_segment_fixed_size: 0
    .kernarg_segment_align: 8
    .kernarg_segment_size: 280
    .language:       OpenCL C
    .language_version:
      - 2
      - 0
    .max_flat_workgroup_size: 1024
    .name:           _Z19moe_sum_kernel_vec4ILi2EEvPfPKfi
    .private_segment_fixed_size: 0
    .sgpr_count:     26
    .sgpr_spill_count: 0
    .symbol:         _Z19moe_sum_kernel_vec4ILi2EEvPfPKfi.kd
    .uniform_work_group_size: 1
    .uses_dynamic_stack: false
    .vgpr_count:     32
    .vgpr_spill_count: 0
    .wavefront_size: 64
  - .agpr_count:     0
    .args:
      - .actual_access:  write_only
        .address_space:  global
        .offset:         0
        .size:           8
        .value_kind:     global_buffer
      - .actual_access:  read_only
        .address_space:  global
        .offset:         8
        .size:           8
        .value_kind:     global_buffer
      - .offset:         16
        .size:           4
        .value_kind:     by_value
      - .offset:         24
        .size:           4
        .value_kind:     hidden_block_count_x
      - .offset:         28
        .size:           4
        .value_kind:     hidden_block_count_y
      - .offset:         32
        .size:           4
        .value_kind:     hidden_block_count_z
      - .offset:         36
        .size:           2
        .value_kind:     hidden_group_size_x
      - .offset:         38
        .size:           2
        .value_kind:     hidden_group_size_y
      - .offset:         40
        .size:           2
        .value_kind:     hidden_group_size_z
      - .offset:         42
        .size:           2
        .value_kind:     hidden_remainder_x
      - .offset:         44
        .size:           2
        .value_kind:     hidden_remainder_y
      - .offset:         46
        .size:           2
        .value_kind:     hidden_remainder_z
      - .offset:         64
        .size:           8
        .value_kind:     hidden_global_offset_x
      - .offset:         72
        .size:           8
        .value_kind:     hidden_global_offset_y
      - .offset:         80
        .size:           8
        .value_kind:     hidden_global_offset_z
      - .offset:         88
        .size:           2
        .value_kind:     hidden_grid_dims
    .group_segment_fixed_size: 0
    .kernarg_segment_align: 8
    .kernarg_segment_size: 280
    .language:       OpenCL C
    .language_version:
      - 2
      - 0
    .max_flat_workgroup_size: 1024
    .name:           _Z19moe_sum_kernel_vec4ILi3EEvPfPKfi
    .private_segment_fixed_size: 0
    .sgpr_count:     28
    .sgpr_spill_count: 0
    .symbol:         _Z19moe_sum_kernel_vec4ILi3EEvPfPKfi.kd
    .uniform_work_group_size: 1
    .uses_dynamic_stack: false
    .vgpr_count:     40
    .vgpr_spill_count: 0
    .wavefront_size: 64
  - .agpr_count:     0
    .args:
      - .actual_access:  write_only
        .address_space:  global
        .offset:         0
        .size:           8
        .value_kind:     global_buffer
      - .actual_access:  read_only
        .address_space:  global
        .offset:         8
        .size:           8
        .value_kind:     global_buffer
      - .offset:         16
        .size:           4
        .value_kind:     by_value
      - .offset:         24
        .size:           4
        .value_kind:     hidden_block_count_x
      - .offset:         28
        .size:           4
        .value_kind:     hidden_block_count_y
      - .offset:         32
        .size:           4
        .value_kind:     hidden_block_count_z
      - .offset:         36
        .size:           2
        .value_kind:     hidden_group_size_x
      - .offset:         38
        .size:           2
        .value_kind:     hidden_group_size_y
      - .offset:         40
        .size:           2
        .value_kind:     hidden_group_size_z
      - .offset:         42
        .size:           2
        .value_kind:     hidden_remainder_x
      - .offset:         44
        .size:           2
        .value_kind:     hidden_remainder_y
      - .offset:         46
        .size:           2
        .value_kind:     hidden_remainder_z
      - .offset:         64
        .size:           8
        .value_kind:     hidden_global_offset_x
      - .offset:         72
        .size:           8
        .value_kind:     hidden_global_offset_y
      - .offset:         80
        .size:           8
        .value_kind:     hidden_global_offset_z
      - .offset:         88
        .size:           2
        .value_kind:     hidden_grid_dims
    .group_segment_fixed_size: 0
    .kernarg_segment_align: 8
    .kernarg_segment_size: 280
    .language:       OpenCL C
    .language_version:
      - 2
      - 0
    .max_flat_workgroup_size: 1024
    .name:           _Z19moe_sum_kernel_vec4ILi4EEvPfPKfi
    .private_segment_fixed_size: 0
    .sgpr_count:     32
    .sgpr_spill_count: 0
    .symbol:         _Z19moe_sum_kernel_vec4ILi4EEvPfPKfi.kd
    .uniform_work_group_size: 1
    .uses_dynamic_stack: false
    .vgpr_count:     52
    .vgpr_spill_count: 0
    .wavefront_size: 64
  - .agpr_count:     0
    .args:
      - .actual_access:  write_only
        .address_space:  global
        .offset:         0
        .size:           8
        .value_kind:     global_buffer
      - .actual_access:  read_only
        .address_space:  global
        .offset:         8
        .size:           8
        .value_kind:     global_buffer
      - .offset:         16
        .size:           4
        .value_kind:     by_value
      - .offset:         24
        .size:           4
        .value_kind:     hidden_block_count_x
      - .offset:         28
        .size:           4
        .value_kind:     hidden_block_count_y
      - .offset:         32
        .size:           4
        .value_kind:     hidden_block_count_z
      - .offset:         36
        .size:           2
        .value_kind:     hidden_group_size_x
      - .offset:         38
        .size:           2
        .value_kind:     hidden_group_size_y
      - .offset:         40
        .size:           2
        .value_kind:     hidden_group_size_z
      - .offset:         42
        .size:           2
        .value_kind:     hidden_remainder_x
      - .offset:         44
        .size:           2
        .value_kind:     hidden_remainder_y
      - .offset:         46
        .size:           2
        .value_kind:     hidden_remainder_z
      - .offset:         64
        .size:           8
        .value_kind:     hidden_global_offset_x
      - .offset:         72
        .size:           8
        .value_kind:     hidden_global_offset_y
      - .offset:         80
        .size:           8
        .value_kind:     hidden_global_offset_z
      - .offset:         88
        .size:           2
        .value_kind:     hidden_grid_dims
    .group_segment_fixed_size: 0
    .kernarg_segment_align: 8
    .kernarg_segment_size: 280
    .language:       OpenCL C
    .language_version:
      - 2
      - 0
    .max_flat_workgroup_size: 1024
    .name:           _Z14moe_sum_kernelIfLi2EEvPT_PKS0_i
    .private_segment_fixed_size: 0
    .sgpr_count:     19
    .sgpr_spill_count: 0
    .symbol:         _Z14moe_sum_kernelIfLi2EEvPT_PKS0_i.kd
    .uniform_work_group_size: 1
    .uses_dynamic_stack: false
    .vgpr_count:     9
    .vgpr_spill_count: 0
    .wavefront_size: 64
  - .agpr_count:     0
    .args:
      - .actual_access:  write_only
        .address_space:  global
        .offset:         0
        .size:           8
        .value_kind:     global_buffer
      - .actual_access:  read_only
        .address_space:  global
        .offset:         8
        .size:           8
        .value_kind:     global_buffer
      - .offset:         16
        .size:           4
        .value_kind:     by_value
      - .offset:         24
        .size:           4
        .value_kind:     hidden_block_count_x
      - .offset:         28
        .size:           4
        .value_kind:     hidden_block_count_y
      - .offset:         32
        .size:           4
        .value_kind:     hidden_block_count_z
      - .offset:         36
        .size:           2
        .value_kind:     hidden_group_size_x
      - .offset:         38
        .size:           2
        .value_kind:     hidden_group_size_y
      - .offset:         40
        .size:           2
        .value_kind:     hidden_group_size_z
      - .offset:         42
        .size:           2
        .value_kind:     hidden_remainder_x
      - .offset:         44
        .size:           2
        .value_kind:     hidden_remainder_y
      - .offset:         46
        .size:           2
        .value_kind:     hidden_remainder_z
      - .offset:         64
        .size:           8
        .value_kind:     hidden_global_offset_x
      - .offset:         72
        .size:           8
        .value_kind:     hidden_global_offset_y
      - .offset:         80
        .size:           8
        .value_kind:     hidden_global_offset_z
      - .offset:         88
        .size:           2
        .value_kind:     hidden_grid_dims
    .group_segment_fixed_size: 0
    .kernarg_segment_align: 8
    .kernarg_segment_size: 280
    .language:       OpenCL C
    .language_version:
      - 2
      - 0
    .max_flat_workgroup_size: 1024
    .name:           _Z14moe_sum_kernelIfLi3EEvPT_PKS0_i
    .private_segment_fixed_size: 0
    .sgpr_count:     19
    .sgpr_spill_count: 0
    .symbol:         _Z14moe_sum_kernelIfLi3EEvPT_PKS0_i.kd
    .uniform_work_group_size: 1
    .uses_dynamic_stack: false
    .vgpr_count:     12
    .vgpr_spill_count: 0
    .wavefront_size: 64
  - .agpr_count:     0
    .args:
      - .actual_access:  write_only
        .address_space:  global
        .offset:         0
        .size:           8
        .value_kind:     global_buffer
      - .actual_access:  read_only
        .address_space:  global
        .offset:         8
        .size:           8
        .value_kind:     global_buffer
      - .offset:         16
        .size:           4
        .value_kind:     by_value
      - .offset:         24
        .size:           4
        .value_kind:     hidden_block_count_x
      - .offset:         28
        .size:           4
        .value_kind:     hidden_block_count_y
      - .offset:         32
        .size:           4
        .value_kind:     hidden_block_count_z
      - .offset:         36
        .size:           2
        .value_kind:     hidden_group_size_x
      - .offset:         38
        .size:           2
        .value_kind:     hidden_group_size_y
      - .offset:         40
        .size:           2
        .value_kind:     hidden_group_size_z
      - .offset:         42
        .size:           2
        .value_kind:     hidden_remainder_x
      - .offset:         44
        .size:           2
        .value_kind:     hidden_remainder_y
      - .offset:         46
        .size:           2
        .value_kind:     hidden_remainder_z
      - .offset:         64
        .size:           8
        .value_kind:     hidden_global_offset_x
      - .offset:         72
        .size:           8
        .value_kind:     hidden_global_offset_y
      - .offset:         80
        .size:           8
        .value_kind:     hidden_global_offset_z
      - .offset:         88
        .size:           2
        .value_kind:     hidden_grid_dims
    .group_segment_fixed_size: 0
    .kernarg_segment_align: 8
    .kernarg_segment_size: 280
    .language:       OpenCL C
    .language_version:
      - 2
      - 0
    .max_flat_workgroup_size: 1024
    .name:           _Z14moe_sum_kernelIfLi4EEvPT_PKS0_i
    .private_segment_fixed_size: 0
    .sgpr_count:     19
    .sgpr_spill_count: 0
    .symbol:         _Z14moe_sum_kernelIfLi4EEvPT_PKS0_i.kd
    .uniform_work_group_size: 1
    .uses_dynamic_stack: false
    .vgpr_count:     15
    .vgpr_spill_count: 0
    .wavefront_size: 64
amdhsa.target:   amdgcn-amd-amdhsa--gfx950
amdhsa.version:
  - 1
  - 2
...

	.end_amdgpu_metadata
